;; amdgpu-corpus repo=ROCm/rocFFT kind=compiled arch=gfx1201 opt=O3
	.text
	.amdgcn_target "amdgcn-amd-amdhsa--gfx1201"
	.amdhsa_code_object_version 6
	.protected	fft_rtc_back_len2560_factors_4_4_4_10_4_wgs_128_tpt_128_halfLds_half_op_CI_CI_unitstride_sbrr_dirReg ; -- Begin function fft_rtc_back_len2560_factors_4_4_4_10_4_wgs_128_tpt_128_halfLds_half_op_CI_CI_unitstride_sbrr_dirReg
	.globl	fft_rtc_back_len2560_factors_4_4_4_10_4_wgs_128_tpt_128_halfLds_half_op_CI_CI_unitstride_sbrr_dirReg
	.p2align	8
	.type	fft_rtc_back_len2560_factors_4_4_4_10_4_wgs_128_tpt_128_halfLds_half_op_CI_CI_unitstride_sbrr_dirReg,@function
fft_rtc_back_len2560_factors_4_4_4_10_4_wgs_128_tpt_128_halfLds_half_op_CI_CI_unitstride_sbrr_dirReg: ; @fft_rtc_back_len2560_factors_4_4_4_10_4_wgs_128_tpt_128_halfLds_half_op_CI_CI_unitstride_sbrr_dirReg
; %bb.0:
	s_clause 0x2
	s_load_b128 s[8:11], s[0:1], 0x0
	s_load_b128 s[4:7], s[0:1], 0x58
	;; [unrolled: 1-line block ×3, first 2 shown]
	v_mov_b32_e32 v3, 0
	v_mov_b32_e32 v1, 0
	v_dual_mov_b32 v2, 0 :: v_dual_mov_b32 v5, ttmp9
	s_mov_b32 s3, 0
	s_delay_alu instid0(VALU_DEP_3) | instskip(SKIP_2) | instid1(VALU_DEP_1)
	v_mov_b32_e32 v6, v3
	s_wait_kmcnt 0x0
	v_cmp_lt_u64_e64 s2, s[10:11], 2
	s_and_b32 vcc_lo, exec_lo, s2
	s_cbranch_vccnz .LBB0_8
; %bb.1:
	s_load_b64 s[20:21], s[0:1], 0x10
	v_mov_b32_e32 v1, 0
	v_mov_b32_e32 v2, 0
	s_add_nc_u64 s[16:17], s[14:15], 8
	s_add_nc_u64 s[18:19], s[12:13], 8
	s_mov_b64 s[22:23], 1
	s_delay_alu instid0(VALU_DEP_1)
	v_dual_mov_b32 v17, v2 :: v_dual_mov_b32 v16, v1
	s_wait_kmcnt 0x0
	s_add_nc_u64 s[20:21], s[20:21], 8
.LBB0_2:                                ; =>This Inner Loop Header: Depth=1
	s_load_b64 s[24:25], s[20:21], 0x0
                                        ; implicit-def: $vgpr18_vgpr19
	s_mov_b32 s2, exec_lo
	s_wait_kmcnt 0x0
	v_or_b32_e32 v4, s25, v6
	s_delay_alu instid0(VALU_DEP_1)
	v_cmpx_ne_u64_e32 0, v[3:4]
	s_wait_alu 0xfffe
	s_xor_b32 s26, exec_lo, s2
	s_cbranch_execz .LBB0_4
; %bb.3:                                ;   in Loop: Header=BB0_2 Depth=1
	s_cvt_f32_u32 s2, s24
	s_cvt_f32_u32 s27, s25
	s_sub_nc_u64 s[30:31], 0, s[24:25]
	s_wait_alu 0xfffe
	s_delay_alu instid0(SALU_CYCLE_1) | instskip(SKIP_1) | instid1(SALU_CYCLE_2)
	s_fmamk_f32 s2, s27, 0x4f800000, s2
	s_wait_alu 0xfffe
	v_s_rcp_f32 s2, s2
	s_delay_alu instid0(TRANS32_DEP_1) | instskip(SKIP_1) | instid1(SALU_CYCLE_2)
	s_mul_f32 s2, s2, 0x5f7ffffc
	s_wait_alu 0xfffe
	s_mul_f32 s27, s2, 0x2f800000
	s_wait_alu 0xfffe
	s_delay_alu instid0(SALU_CYCLE_2) | instskip(SKIP_1) | instid1(SALU_CYCLE_2)
	s_trunc_f32 s27, s27
	s_wait_alu 0xfffe
	s_fmamk_f32 s2, s27, 0xcf800000, s2
	s_cvt_u32_f32 s29, s27
	s_wait_alu 0xfffe
	s_delay_alu instid0(SALU_CYCLE_1) | instskip(SKIP_1) | instid1(SALU_CYCLE_2)
	s_cvt_u32_f32 s28, s2
	s_wait_alu 0xfffe
	s_mul_u64 s[34:35], s[30:31], s[28:29]
	s_wait_alu 0xfffe
	s_mul_hi_u32 s37, s28, s35
	s_mul_i32 s36, s28, s35
	s_mul_hi_u32 s2, s28, s34
	s_mul_i32 s33, s29, s34
	s_wait_alu 0xfffe
	s_add_nc_u64 s[36:37], s[2:3], s[36:37]
	s_mul_hi_u32 s27, s29, s34
	s_mul_hi_u32 s38, s29, s35
	s_add_co_u32 s2, s36, s33
	s_wait_alu 0xfffe
	s_add_co_ci_u32 s2, s37, s27
	s_mul_i32 s34, s29, s35
	s_add_co_ci_u32 s35, s38, 0
	s_wait_alu 0xfffe
	s_add_nc_u64 s[34:35], s[2:3], s[34:35]
	s_wait_alu 0xfffe
	v_add_co_u32 v4, s2, s28, s34
	s_delay_alu instid0(VALU_DEP_1) | instskip(SKIP_1) | instid1(VALU_DEP_1)
	s_cmp_lg_u32 s2, 0
	s_add_co_ci_u32 s29, s29, s35
	v_readfirstlane_b32 s28, v4
	s_wait_alu 0xfffe
	s_delay_alu instid0(VALU_DEP_1)
	s_mul_u64 s[30:31], s[30:31], s[28:29]
	s_wait_alu 0xfffe
	s_mul_hi_u32 s35, s28, s31
	s_mul_i32 s34, s28, s31
	s_mul_hi_u32 s2, s28, s30
	s_mul_i32 s33, s29, s30
	s_wait_alu 0xfffe
	s_add_nc_u64 s[34:35], s[2:3], s[34:35]
	s_mul_hi_u32 s27, s29, s30
	s_mul_hi_u32 s28, s29, s31
	s_wait_alu 0xfffe
	s_add_co_u32 s2, s34, s33
	s_add_co_ci_u32 s2, s35, s27
	s_mul_i32 s30, s29, s31
	s_add_co_ci_u32 s31, s28, 0
	s_wait_alu 0xfffe
	s_add_nc_u64 s[30:31], s[2:3], s[30:31]
	s_wait_alu 0xfffe
	v_add_co_u32 v4, s2, v4, s30
	s_delay_alu instid0(VALU_DEP_1) | instskip(SKIP_1) | instid1(VALU_DEP_1)
	s_cmp_lg_u32 s2, 0
	s_add_co_ci_u32 s2, s29, s31
	v_mul_hi_u32 v13, v5, v4
	s_wait_alu 0xfffe
	v_mad_co_u64_u32 v[7:8], null, v5, s2, 0
	v_mad_co_u64_u32 v[9:10], null, v6, v4, 0
	;; [unrolled: 1-line block ×3, first 2 shown]
	s_delay_alu instid0(VALU_DEP_3) | instskip(SKIP_1) | instid1(VALU_DEP_4)
	v_add_co_u32 v4, vcc_lo, v13, v7
	s_wait_alu 0xfffd
	v_add_co_ci_u32_e32 v7, vcc_lo, 0, v8, vcc_lo
	s_delay_alu instid0(VALU_DEP_2) | instskip(SKIP_1) | instid1(VALU_DEP_2)
	v_add_co_u32 v4, vcc_lo, v4, v9
	s_wait_alu 0xfffd
	v_add_co_ci_u32_e32 v4, vcc_lo, v7, v10, vcc_lo
	s_wait_alu 0xfffd
	v_add_co_ci_u32_e32 v7, vcc_lo, 0, v12, vcc_lo
	s_delay_alu instid0(VALU_DEP_2) | instskip(SKIP_1) | instid1(VALU_DEP_2)
	v_add_co_u32 v4, vcc_lo, v4, v11
	s_wait_alu 0xfffd
	v_add_co_ci_u32_e32 v9, vcc_lo, 0, v7, vcc_lo
	s_delay_alu instid0(VALU_DEP_2) | instskip(SKIP_1) | instid1(VALU_DEP_3)
	v_mul_lo_u32 v10, s25, v4
	v_mad_co_u64_u32 v[7:8], null, s24, v4, 0
	v_mul_lo_u32 v11, s24, v9
	s_delay_alu instid0(VALU_DEP_2) | instskip(NEXT) | instid1(VALU_DEP_2)
	v_sub_co_u32 v7, vcc_lo, v5, v7
	v_add3_u32 v8, v8, v11, v10
	s_delay_alu instid0(VALU_DEP_1) | instskip(SKIP_1) | instid1(VALU_DEP_1)
	v_sub_nc_u32_e32 v10, v6, v8
	s_wait_alu 0xfffd
	v_subrev_co_ci_u32_e64 v10, s2, s25, v10, vcc_lo
	v_add_co_u32 v11, s2, v4, 2
	s_wait_alu 0xf1ff
	v_add_co_ci_u32_e64 v12, s2, 0, v9, s2
	v_sub_co_u32 v13, s2, v7, s24
	v_sub_co_ci_u32_e32 v8, vcc_lo, v6, v8, vcc_lo
	s_wait_alu 0xf1ff
	v_subrev_co_ci_u32_e64 v10, s2, 0, v10, s2
	s_delay_alu instid0(VALU_DEP_3) | instskip(NEXT) | instid1(VALU_DEP_3)
	v_cmp_le_u32_e32 vcc_lo, s24, v13
	v_cmp_eq_u32_e64 s2, s25, v8
	s_wait_alu 0xfffd
	v_cndmask_b32_e64 v13, 0, -1, vcc_lo
	v_cmp_le_u32_e32 vcc_lo, s25, v10
	s_wait_alu 0xfffd
	v_cndmask_b32_e64 v14, 0, -1, vcc_lo
	v_cmp_le_u32_e32 vcc_lo, s24, v7
	;; [unrolled: 3-line block ×3, first 2 shown]
	s_wait_alu 0xfffd
	v_cndmask_b32_e64 v15, 0, -1, vcc_lo
	v_cmp_eq_u32_e32 vcc_lo, s25, v10
	s_wait_alu 0xf1ff
	s_delay_alu instid0(VALU_DEP_2)
	v_cndmask_b32_e64 v7, v15, v7, s2
	s_wait_alu 0xfffd
	v_cndmask_b32_e32 v10, v14, v13, vcc_lo
	v_add_co_u32 v13, vcc_lo, v4, 1
	s_wait_alu 0xfffd
	v_add_co_ci_u32_e32 v14, vcc_lo, 0, v9, vcc_lo
	s_delay_alu instid0(VALU_DEP_3) | instskip(SKIP_1) | instid1(VALU_DEP_2)
	v_cmp_ne_u32_e32 vcc_lo, 0, v10
	s_wait_alu 0xfffd
	v_cndmask_b32_e32 v8, v14, v12, vcc_lo
	v_cndmask_b32_e32 v10, v13, v11, vcc_lo
	v_cmp_ne_u32_e32 vcc_lo, 0, v7
	s_wait_alu 0xfffd
	s_delay_alu instid0(VALU_DEP_2)
	v_dual_cndmask_b32 v19, v9, v8 :: v_dual_cndmask_b32 v18, v4, v10
.LBB0_4:                                ;   in Loop: Header=BB0_2 Depth=1
	s_wait_alu 0xfffe
	s_and_not1_saveexec_b32 s2, s26
	s_cbranch_execz .LBB0_6
; %bb.5:                                ;   in Loop: Header=BB0_2 Depth=1
	v_cvt_f32_u32_e32 v4, s24
	s_sub_co_i32 s26, 0, s24
	v_mov_b32_e32 v19, v3
	s_delay_alu instid0(VALU_DEP_2) | instskip(NEXT) | instid1(TRANS32_DEP_1)
	v_rcp_iflag_f32_e32 v4, v4
	v_mul_f32_e32 v4, 0x4f7ffffe, v4
	s_delay_alu instid0(VALU_DEP_1) | instskip(SKIP_1) | instid1(VALU_DEP_1)
	v_cvt_u32_f32_e32 v4, v4
	s_wait_alu 0xfffe
	v_mul_lo_u32 v7, s26, v4
	s_delay_alu instid0(VALU_DEP_1) | instskip(NEXT) | instid1(VALU_DEP_1)
	v_mul_hi_u32 v7, v4, v7
	v_add_nc_u32_e32 v4, v4, v7
	s_delay_alu instid0(VALU_DEP_1) | instskip(NEXT) | instid1(VALU_DEP_1)
	v_mul_hi_u32 v4, v5, v4
	v_mul_lo_u32 v7, v4, s24
	v_add_nc_u32_e32 v8, 1, v4
	s_delay_alu instid0(VALU_DEP_2) | instskip(NEXT) | instid1(VALU_DEP_1)
	v_sub_nc_u32_e32 v7, v5, v7
	v_subrev_nc_u32_e32 v9, s24, v7
	v_cmp_le_u32_e32 vcc_lo, s24, v7
	s_wait_alu 0xfffd
	s_delay_alu instid0(VALU_DEP_2) | instskip(NEXT) | instid1(VALU_DEP_1)
	v_dual_cndmask_b32 v7, v7, v9 :: v_dual_cndmask_b32 v4, v4, v8
	v_cmp_le_u32_e32 vcc_lo, s24, v7
	s_delay_alu instid0(VALU_DEP_2) | instskip(SKIP_1) | instid1(VALU_DEP_1)
	v_add_nc_u32_e32 v8, 1, v4
	s_wait_alu 0xfffd
	v_cndmask_b32_e32 v18, v4, v8, vcc_lo
.LBB0_6:                                ;   in Loop: Header=BB0_2 Depth=1
	s_wait_alu 0xfffe
	s_or_b32 exec_lo, exec_lo, s2
	v_mul_lo_u32 v4, v19, s24
	s_delay_alu instid0(VALU_DEP_2)
	v_mul_lo_u32 v9, v18, s25
	s_load_b64 s[26:27], s[18:19], 0x0
	v_mad_co_u64_u32 v[7:8], null, v18, s24, 0
	s_load_b64 s[24:25], s[16:17], 0x0
	s_add_nc_u64 s[22:23], s[22:23], 1
	s_add_nc_u64 s[16:17], s[16:17], 8
	s_wait_alu 0xfffe
	v_cmp_ge_u64_e64 s2, s[22:23], s[10:11]
	s_add_nc_u64 s[18:19], s[18:19], 8
	s_add_nc_u64 s[20:21], s[20:21], 8
	v_add3_u32 v4, v8, v9, v4
	v_sub_co_u32 v5, vcc_lo, v5, v7
	s_wait_alu 0xfffd
	s_delay_alu instid0(VALU_DEP_2) | instskip(SKIP_2) | instid1(VALU_DEP_1)
	v_sub_co_ci_u32_e32 v4, vcc_lo, v6, v4, vcc_lo
	s_and_b32 vcc_lo, exec_lo, s2
	s_wait_kmcnt 0x0
	v_mul_lo_u32 v6, s26, v4
	v_mul_lo_u32 v7, s27, v5
	v_mad_co_u64_u32 v[1:2], null, s26, v5, v[1:2]
	v_mul_lo_u32 v4, s24, v4
	v_mul_lo_u32 v8, s25, v5
	v_mad_co_u64_u32 v[16:17], null, s24, v5, v[16:17]
	s_delay_alu instid0(VALU_DEP_4) | instskip(NEXT) | instid1(VALU_DEP_2)
	v_add3_u32 v2, v7, v2, v6
	v_add3_u32 v17, v8, v17, v4
	s_wait_alu 0xfffe
	s_cbranch_vccnz .LBB0_9
; %bb.7:                                ;   in Loop: Header=BB0_2 Depth=1
	v_dual_mov_b32 v5, v18 :: v_dual_mov_b32 v6, v19
	s_branch .LBB0_2
.LBB0_8:
	v_dual_mov_b32 v17, v2 :: v_dual_mov_b32 v16, v1
	v_dual_mov_b32 v19, v6 :: v_dual_mov_b32 v18, v5
.LBB0_9:
	s_load_b64 s[0:1], s[0:1], 0x28
	v_or_b32_e32 v27, 0x80, v0
	v_or_b32_e32 v28, 0x100, v0
	;; [unrolled: 1-line block ×4, first 2 shown]
	s_lshl_b64 s[10:11], s[10:11], 3
                                        ; implicit-def: $sgpr2
	s_wait_kmcnt 0x0
	v_cmp_gt_u64_e32 vcc_lo, s[0:1], v[18:19]
	v_cmp_le_u64_e64 s0, s[0:1], v[18:19]
	s_delay_alu instid0(VALU_DEP_1)
	s_and_saveexec_b32 s1, s0
	s_wait_alu 0xfffe
	s_xor_b32 s0, exec_lo, s1
; %bb.10:
	v_or_b32_e32 v27, 0x80, v0
	v_or_b32_e32 v28, 0x100, v0
	;; [unrolled: 1-line block ×4, first 2 shown]
	s_mov_b32 s2, 0
                                        ; implicit-def: $vgpr1_vgpr2
; %bb.11:
	s_wait_alu 0xfffe
	s_or_saveexec_b32 s1, s0
	v_dual_mov_b32 v21, s2 :: v_dual_mov_b32 v38, s2
	v_dual_mov_b32 v22, s2 :: v_dual_mov_b32 v5, s2
	v_dual_mov_b32 v26, s2 :: v_dual_mov_b32 v9, s2
	v_dual_mov_b32 v10, s2 :: v_dual_mov_b32 v3, s2
	v_mov_b32_e32 v6, s2
	v_mov_b32_e32 v4, s2
	s_add_nc_u64 s[2:3], s[14:15], s[10:11]
                                        ; implicit-def: $vgpr39
                                        ; implicit-def: $vgpr35
                                        ; implicit-def: $vgpr40
                                        ; implicit-def: $vgpr34
                                        ; implicit-def: $vgpr36
                                        ; implicit-def: $vgpr31
                                        ; implicit-def: $vgpr37
                                        ; implicit-def: $vgpr25
                                        ; implicit-def: $vgpr32
                                        ; implicit-def: $vgpr15
                                        ; implicit-def: $vgpr33
                                        ; implicit-def: $vgpr20
                                        ; implicit-def: $vgpr23
                                        ; implicit-def: $vgpr11
                                        ; implicit-def: $vgpr24
                                        ; implicit-def: $vgpr14
                                        ; implicit-def: $vgpr12
                                        ; implicit-def: $vgpr7
                                        ; implicit-def: $vgpr13
                                        ; implicit-def: $vgpr8
	s_wait_alu 0xfffe
	s_xor_b32 exec_lo, exec_lo, s1
	s_cbranch_execz .LBB0_13
; %bb.12:
	s_add_nc_u64 s[10:11], s[12:13], s[10:11]
	v_lshlrev_b64_e32 v[1:2], 2, v[1:2]
	s_load_b64 s[10:11], s[10:11], 0x0
	s_wait_kmcnt 0x0
	v_mul_lo_u32 v5, s11, v18
	v_mul_lo_u32 v6, s10, v19
	v_mad_co_u64_u32 v[3:4], null, s10, v18, 0
	s_delay_alu instid0(VALU_DEP_1) | instskip(SKIP_1) | instid1(VALU_DEP_2)
	v_add3_u32 v4, v4, v6, v5
	v_lshlrev_b32_e32 v5, 2, v0
	v_lshlrev_b64_e32 v[3:4], 2, v[3:4]
	s_delay_alu instid0(VALU_DEP_2) | instskip(NEXT) | instid1(VALU_DEP_2)
	v_or_b32_e32 v6, 0x1e00, v5
	v_add_co_u32 v3, s0, s4, v3
	s_wait_alu 0xf1ff
	s_delay_alu instid0(VALU_DEP_3) | instskip(NEXT) | instid1(VALU_DEP_2)
	v_add_co_ci_u32_e64 v4, s0, s5, v4, s0
	v_add_co_u32 v7, s0, v3, v1
	s_wait_alu 0xf1ff
	s_delay_alu instid0(VALU_DEP_2) | instskip(SKIP_1) | instid1(VALU_DEP_3)
	v_add_co_ci_u32_e64 v8, s0, v4, v2, s0
	v_or_b32_e32 v3, 0xe00, v5
	v_add_co_u32 v1, s0, v7, v6
	s_wait_alu 0xf1ff
	s_delay_alu instid0(VALU_DEP_3) | instskip(NEXT) | instid1(VALU_DEP_3)
	v_add_co_ci_u32_e64 v2, s0, 0, v8, s0
	v_add_co_u32 v3, s0, v7, v3
	s_wait_alu 0xf1ff
	v_add_co_ci_u32_e64 v4, s0, 0, v8, s0
	v_add_co_u32 v12, s0, v7, v5
	s_wait_alu 0xf1ff
	v_add_co_ci_u32_e64 v13, s0, 0, v8, s0
	s_clause 0x13
	global_load_b32 v34, v[1:2], off
	global_load_b32 v6, v[3:4], off
	global_load_b32 v35, v[12:13], off offset:5120
	global_load_b32 v31, v[12:13], off offset:5632
	;; [unrolled: 1-line block ×5, first 2 shown]
	global_load_b32 v21, v[12:13], off
	global_load_b32 v22, v[12:13], off offset:512
	global_load_b32 v10, v[12:13], off offset:1024
	;; [unrolled: 1-line block ×12, first 2 shown]
	s_wait_loadcnt 0x13
	v_lshrrev_b32_e32 v40, 16, v34
	s_wait_loadcnt 0x11
	v_lshrrev_b32_e32 v39, 16, v35
	;; [unrolled: 2-line block ×10, first 2 shown]
.LBB0_13:
	s_or_b32 exec_lo, exec_lo, s1
	v_lshrrev_b32_e32 v43, 16, v10
	v_lshrrev_b32_e32 v44, 16, v6
	;; [unrolled: 1-line block ×3, first 2 shown]
	v_sub_f16_e32 v31, v22, v31
	s_wait_loadcnt 0x4
	v_lshrrev_b32_e32 v42, 16, v26
	v_sub_f16_e32 v25, v26, v25
	v_sub_f16_e32 v32, v43, v32
	;; [unrolled: 1-line block ×5, first 2 shown]
	v_fma_f16 v22, v22, 2.0, -v31
	v_fma_f16 v26, v26, 2.0, -v25
	;; [unrolled: 1-line block ×5, first 2 shown]
	v_add_f16_e32 v37, v31, v37
	v_sub_f16_e32 v26, v22, v26
	v_sub_f16_e32 v46, v36, v25
	;; [unrolled: 1-line block ×3, first 2 shown]
	v_lshrrev_b32_e32 v1, 16, v21
	s_wait_loadcnt 0x2
	v_lshrrev_b32_e32 v2, 16, v38
	v_sub_f16_e32 v35, v21, v35
	v_sub_f16_e32 v34, v38, v34
	v_fma_f16 v41, v41, 2.0, -v36
	v_fma_f16 v45, v22, 2.0, -v26
	;; [unrolled: 1-line block ×5, first 2 shown]
	v_lshrrev_b32_e32 v22, 16, v5
	v_lshrrev_b32_e32 v43, 16, v9
	v_sub_f16_e32 v15, v10, v15
	v_sub_f16_e32 v20, v6, v20
	;; [unrolled: 1-line block ×4, first 2 shown]
	s_wait_loadcnt 0x1
	v_lshrrev_b32_e32 v47, 16, v3
	s_wait_loadcnt 0x0
	v_lshrrev_b32_e32 v48, 16, v4
	v_sub_f16_e32 v7, v3, v7
	v_sub_f16_e32 v8, v4, v8
	;; [unrolled: 1-line block ×4, first 2 shown]
	v_fma_f16 v21, v21, 2.0, -v35
	v_fma_f16 v38, v38, 2.0, -v34
	v_sub_f16_e32 v23, v22, v23
	v_sub_f16_e32 v24, v43, v24
	v_fma_f16 v10, v10, 2.0, -v15
	v_fma_f16 v6, v6, 2.0, -v20
	;; [unrolled: 1-line block ×4, first 2 shown]
	v_sub_f16_e32 v12, v47, v12
	v_sub_f16_e32 v13, v48, v13
	v_fma_f16 v3, v3, 2.0, -v7
	v_fma_f16 v4, v4, 2.0, -v8
	;; [unrolled: 1-line block ×4, first 2 shown]
	v_sub_f16_e32 v38, v21, v38
	v_add_f16_e32 v40, v35, v40
	v_fma_f16 v22, v22, 2.0, -v23
	v_fma_f16 v43, v43, 2.0, -v24
	v_sub_f16_e32 v6, v10, v6
	v_add_f16_e32 v33, v15, v33
	v_sub_f16_e32 v9, v5, v9
	v_add_f16_e32 v49, v11, v24
	v_fma_f16 v24, v47, 2.0, -v12
	v_fma_f16 v47, v48, 2.0, -v13
	v_sub_f16_e32 v4, v3, v4
	v_add_f16_e32 v13, v7, v13
	v_sub_f16_e32 v2, v1, v2
	v_sub_f16_e32 v34, v39, v34
	v_fma_f16 v21, v21, 2.0, -v38
	v_fma_f16 v35, v35, 2.0, -v40
	v_sub_f16_e32 v8, v12, v8
	v_sub_f16_e32 v43, v22, v43
	v_fma_f16 v10, v10, 2.0, -v6
	v_fma_f16 v15, v15, 2.0, -v33
	v_sub_f16_e32 v14, v23, v14
	v_fma_f16 v5, v5, 2.0, -v9
	v_fma_f16 v11, v11, 2.0, -v49
	;; [unrolled: 3-line block ×3, first 2 shown]
	v_fma_f16 v1, v1, 2.0, -v2
	v_fma_f16 v39, v39, 2.0, -v34
	v_sub_f16_e32 v42, v41, v42
	v_sub_f16_e32 v20, v32, v20
	v_fma_f16 v52, v12, 2.0, -v8
	v_lshl_add_u32 v53, v0, 3, 0
	v_pack_b32_f16 v12, v38, v40
	v_pack_b32_f16 v21, v21, v35
	v_fma_f16 v48, v22, 2.0, -v43
	v_lshl_add_u32 v22, v27, 3, 0
	v_pack_b32_f16 v26, v26, v37
	v_pack_b32_f16 v35, v45, v25
	;; [unrolled: 4-line block ×4, first 2 shown]
	v_lshl_add_u32 v25, v30, 3, 0
	v_pack_b32_f16 v4, v4, v13
	v_pack_b32_f16 v3, v3, v7
	s_load_b64 s[0:1], s[2:3], 0x0
	v_fma_f16 v41, v41, 2.0, -v42
	v_fma_f16 v32, v32, 2.0, -v20
	ds_store_2addr_b32 v53, v21, v12 offset1:1
	ds_store_2addr_b32 v22, v35, v26 offset1:1
	;; [unrolled: 1-line block ×5, first 2 shown]
	v_mad_i32_i24 v26, v0, -6, v53
	v_pack_b32_f16 v2, v2, v34
	v_pack_b32_f16 v1, v1, v39
	;; [unrolled: 1-line block ×3, first 2 shown]
	v_and_b32_e32 v20, 3, v0
	v_mad_i32_i24 v9, v27, -6, v22
	v_mad_i32_i24 v10, v28, -6, v23
	;; [unrolled: 1-line block ×3, first 2 shown]
	global_wb scope:SCOPE_SE
	s_wait_dscnt 0x0
	s_wait_kmcnt 0x0
	s_barrier_signal -1
	s_barrier_wait -1
	global_inv scope:SCOPE_SE
	ds_load_u16 v13, v26
	ds_load_u16 v15, v26 offset:1280
	ds_load_u16 v21, v26 offset:1536
	;; [unrolled: 1-line block ×4, first 2 shown]
	v_mad_i32_i24 v12, v30, -6, v25
	ds_load_u16 v37, v26 offset:3072
	ds_load_u16 v38, v26 offset:3328
	ds_load_u16 v40, v9
	ds_load_u16 v45, v10
	;; [unrolled: 1-line block ×4, first 2 shown]
	ds_load_u16 v55, v26 offset:2816
	ds_load_u16 v56, v26 offset:2560
	;; [unrolled: 1-line block ×9, first 2 shown]
	global_wb scope:SCOPE_SE
	s_wait_dscnt 0x0
	s_barrier_signal -1
	s_barrier_wait -1
	global_inv scope:SCOPE_SE
	ds_store_2addr_b32 v53, v1, v2 offset1:1
	v_pack_b32_f16 v1, v42, v46
	v_pack_b32_f16 v2, v41, v31
	;; [unrolled: 1-line block ×3, first 2 shown]
	v_mul_u32_u24_e32 v14, 3, v20
	v_pack_b32_f16 v4, v36, v32
	v_pack_b32_f16 v6, v48, v50
	;; [unrolled: 1-line block ×4, first 2 shown]
	ds_store_2addr_b32 v22, v2, v1 offset1:1
	ds_store_2addr_b32 v23, v4, v3 offset1:1
	;; [unrolled: 1-line block ×4, first 2 shown]
	v_lshlrev_b32_e32 v1, 2, v14
	global_wb scope:SCOPE_SE
	s_wait_dscnt 0x0
	s_barrier_signal -1
	s_barrier_wait -1
	global_inv scope:SCOPE_SE
	global_load_b96 v[6:8], v1, s[8:9]
	ds_load_u16 v36, v26 offset:3840
	ds_load_u16 v39, v26 offset:2560
	;; [unrolled: 1-line block ×3, first 2 shown]
	ds_load_u16 v42, v26
	ds_load_u16 v43, v26 offset:1280
	ds_load_u16 v44, v26 offset:1536
	;; [unrolled: 1-line block ×6, first 2 shown]
	ds_load_u16 v51, v9
	ds_load_u16 v52, v10
	;; [unrolled: 1-line block ×4, first 2 shown]
	ds_load_u16 v65, v26 offset:2304
	ds_load_u16 v66, v26 offset:4096
	;; [unrolled: 1-line block ×6, first 2 shown]
	v_lshlrev_b32_e32 v1, 2, v0
	v_lshlrev_b32_e32 v2, 2, v27
	;; [unrolled: 1-line block ×5, first 2 shown]
	v_and_or_b32 v14, 0x1f0, v1, v20
	v_and_or_b32 v31, 0x3f0, v2, v20
	;; [unrolled: 1-line block ×5, first 2 shown]
	v_lshl_add_u32 v14, v14, 1, 0
	v_lshl_add_u32 v31, v31, 1, 0
	;; [unrolled: 1-line block ×5, first 2 shown]
	global_wb scope:SCOPE_SE
	s_wait_loadcnt_dscnt 0x0
	s_barrier_signal -1
	s_barrier_wait -1
	global_inv scope:SCOPE_SE
	v_lshrrev_b32_e32 v71, 16, v6
	v_lshrrev_b32_e32 v72, 16, v7
	v_lshrrev_b32_e32 v73, 16, v8
	s_delay_alu instid0(VALU_DEP_3) | instskip(NEXT) | instid1(VALU_DEP_3)
	v_mul_f16_e32 v74, v43, v71
	v_mul_f16_e32 v76, v39, v72
	;; [unrolled: 1-line block ×3, first 2 shown]
	s_delay_alu instid0(VALU_DEP_4)
	v_mul_f16_e32 v78, v36, v73
	v_mul_f16_e32 v75, v15, v71
	;; [unrolled: 1-line block ×14, first 2 shown]
	v_fmac_f16_e32 v74, v15, v6
	v_mul_f16_e32 v15, v68, v73
	v_fmac_f16_e32 v76, v56, v7
	v_mul_f16_e32 v56, v65, v71
	v_fma_f16 v39, v39, v7, -v77
	v_mul_f16_e32 v77, v70, v72
	v_fmac_f16_e32 v78, v62, v8
	v_mul_f16_e32 v62, v69, v73
	v_mul_f16_e32 v87, v33, v71
	;; [unrolled: 1-line block ×4, first 2 shown]
	v_fma_f16 v43, v43, v6, -v75
	v_fma_f16 v36, v36, v8, -v79
	v_mul_f16_e32 v95, v38, v72
	v_mul_f16_e32 v93, v35, v71
	;; [unrolled: 1-line block ×5, first 2 shown]
	v_fmac_f16_e32 v80, v21, v6
	v_fma_f16 v21, v44, v6, -v81
	v_fmac_f16_e32 v82, v55, v7
	v_fma_f16 v41, v41, v7, -v83
	v_fmac_f16_e32 v84, v61, v8
	v_fma_f16 v44, v66, v8, -v85
	v_fmac_f16_e32 v86, v33, v6
	v_fmac_f16_e32 v88, v37, v7
	;; [unrolled: 1-line block ×9, first 2 shown]
	v_mul_f16_e32 v72, v63, v72
	v_fma_f16 v33, v46, v6, -v87
	v_fma_f16 v37, v48, v7, -v89
	;; [unrolled: 1-line block ×3, first 2 shown]
	v_sub_f16_e32 v39, v42, v39
	v_sub_f16_e32 v36, v43, v36
	v_fma_f16 v38, v50, v7, -v95
	v_sub_f16_e32 v48, v13, v76
	v_sub_f16_e32 v50, v74, v78
	v_fma_f16 v35, v47, v6, -v93
	v_fma_f16 v47, v68, v8, -v75
	;; [unrolled: 1-line block ×4, first 2 shown]
	v_sub_f16_e32 v55, v40, v82
	v_sub_f16_e32 v41, v51, v41
	;; [unrolled: 1-line block ×10, first 2 shown]
	v_fma_f16 v7, v70, v7, -v72
	v_sub_f16_e32 v37, v52, v37
	v_sub_f16_e32 v46, v33, v46
	v_fma_f16 v42, v42, 2.0, -v39
	v_fma_f16 v43, v43, 2.0, -v36
	;; [unrolled: 1-line block ×4, first 2 shown]
	v_sub_f16_e32 v47, v35, v47
	v_sub_f16_e32 v8, v6, v8
	v_fma_f16 v40, v40, 2.0, -v55
	v_fma_f16 v51, v51, 2.0, -v41
	;; [unrolled: 1-line block ×10, first 2 shown]
	v_sub_f16_e32 v38, v53, v38
	v_sub_f16_e32 v7, v64, v7
	v_add_f16_e32 v36, v48, v36
	v_fma_f16 v52, v52, 2.0, -v37
	v_fma_f16 v33, v33, 2.0, -v46
	v_sub_f16_e32 v43, v42, v43
	v_sub_f16_e32 v50, v39, v50
	;; [unrolled: 1-line block ×3, first 2 shown]
	v_add_f16_e32 v44, v55, v44
	v_add_f16_e32 v46, v58, v46
	v_fma_f16 v35, v35, 2.0, -v47
	v_add_f16_e32 v47, v60, v47
	v_fma_f16 v6, v6, 2.0, -v8
	v_add_f16_e32 v8, v61, v8
	v_sub_f16_e32 v65, v40, v65
	v_sub_f16_e32 v21, v51, v21
	;; [unrolled: 1-line block ×7, first 2 shown]
	v_fma_f16 v53, v53, 2.0, -v38
	v_fma_f16 v64, v64, 2.0, -v7
	;; [unrolled: 1-line block ×3, first 2 shown]
	v_sub_f16_e32 v33, v52, v33
	v_fma_f16 v42, v42, 2.0, -v43
	v_fma_f16 v39, v39, 2.0, -v50
	;; [unrolled: 1-line block ×14, first 2 shown]
	v_sub_f16_e32 v35, v53, v35
	v_sub_f16_e32 v6, v64, v6
	v_fma_f16 v52, v52, 2.0, -v33
	ds_store_b16 v14, v48 offset:8
	ds_store_b16 v14, v36 offset:24
	ds_store_b16 v14, v63 offset:16
	ds_store_b16 v14, v13
	ds_store_b16 v31, v40
	ds_store_b16 v31, v55 offset:8
	ds_store_b16 v31, v65 offset:16
	ds_store_b16 v31, v44 offset:24
	ds_store_b16 v32, v45
	ds_store_b16 v32, v58 offset:8
	ds_store_b16 v32, v66 offset:16
	ds_store_b16 v32, v46 offset:24
	ds_store_b16 v34, v49
	ds_store_b16 v34, v60 offset:8
	ds_store_b16 v34, v67 offset:16
	ds_store_b16 v34, v47 offset:24
	ds_store_b16 v20, v54
	ds_store_b16 v20, v61 offset:8
	ds_store_b16 v20, v56 offset:16
	ds_store_b16 v20, v8 offset:24
	global_wb scope:SCOPE_SE
	s_wait_dscnt 0x0
	s_barrier_signal -1
	s_barrier_wait -1
	global_inv scope:SCOPE_SE
	ds_load_u16 v13, v26
	ds_load_u16 v36, v26 offset:1280
	ds_load_u16 v40, v26 offset:1536
	;; [unrolled: 1-line block ×6, first 2 shown]
	ds_load_u16 v49, v9
	ds_load_u16 v54, v10
	;; [unrolled: 1-line block ×4, first 2 shown]
	ds_load_u16 v58, v26 offset:2816
	ds_load_u16 v60, v26 offset:2560
	;; [unrolled: 1-line block ×9, first 2 shown]
	global_wb scope:SCOPE_SE
	s_wait_dscnt 0x0
	s_barrier_signal -1
	s_barrier_wait -1
	global_inv scope:SCOPE_SE
	ds_store_b16 v14, v42
	ds_store_b16 v14, v39 offset:8
	ds_store_b16 v14, v43 offset:16
	ds_store_b16 v14, v50 offset:24
	ds_store_b16 v31, v51
	ds_store_b16 v31, v41 offset:8
	ds_store_b16 v31, v21 offset:16
	ds_store_b16 v31, v57 offset:24
	;; [unrolled: 4-line block ×3, first 2 shown]
	v_and_b32_e32 v14, 15, v0
	v_sub_f16_e32 v15, v38, v15
	v_sub_f16_e32 v62, v7, v62
	v_fma_f16 v53, v53, 2.0, -v35
	v_fma_f16 v64, v64, 2.0, -v6
	v_mul_u32_u24_e32 v8, 3, v14
	v_fma_f16 v38, v38, 2.0, -v15
	v_fma_f16 v7, v7, 2.0, -v62
	ds_store_b16 v34, v53
	ds_store_b16 v34, v38 offset:8
	ds_store_b16 v34, v35 offset:16
	;; [unrolled: 1-line block ×3, first 2 shown]
	ds_store_b16 v20, v64
	ds_store_b16 v20, v7 offset:8
	ds_store_b16 v20, v6 offset:16
	;; [unrolled: 1-line block ×3, first 2 shown]
	v_lshlrev_b32_e32 v6, 2, v8
	global_wb scope:SCOPE_SE
	s_wait_dscnt 0x0
	s_barrier_signal -1
	s_barrier_wait -1
	global_inv scope:SCOPE_SE
	global_load_b96 v[6:8], v6, s[8:9] offset:48
	v_and_b32_e32 v47, 63, v0
	v_and_or_b32 v1, 0x1c0, v1, v14
	v_and_or_b32 v2, 0x3c0, v2, v14
	;; [unrolled: 1-line block ×5, first 2 shown]
	v_mul_u32_u24_e32 v14, 9, v47
	v_lshl_add_u32 v1, v1, 1, 0
	v_lshl_add_u32 v2, v2, 1, 0
	;; [unrolled: 1-line block ×4, first 2 shown]
	v_lshlrev_b32_e32 v50, 2, v14
	ds_load_u16 v14, v26 offset:3840
	ds_load_u16 v15, v26 offset:2560
	;; [unrolled: 1-line block ×3, first 2 shown]
	ds_load_u16 v21, v26
	ds_load_u16 v31, v26 offset:1280
	ds_load_u16 v32, v26 offset:1536
	ds_load_u16 v33, v26 offset:1792
	ds_load_u16 v34, v26 offset:2048
	ds_load_u16 v35, v26 offset:3072
	ds_load_u16 v37, v26 offset:3328
	ds_load_u16 v38, v9
	ds_load_u16 v39, v10
	;; [unrolled: 1-line block ×4, first 2 shown]
	ds_load_u16 v43, v26 offset:2304
	ds_load_u16 v51, v26 offset:4096
	;; [unrolled: 1-line block ×6, first 2 shown]
	v_lshl_add_u32 v5, v5, 1, 0
	global_wb scope:SCOPE_SE
	s_wait_loadcnt_dscnt 0x0
	s_barrier_signal -1
	s_barrier_wait -1
	global_inv scope:SCOPE_SE
	v_lshrrev_b32_e32 v62, 16, v6
	v_lshrrev_b32_e32 v64, 16, v7
	;; [unrolled: 1-line block ×3, first 2 shown]
	s_delay_alu instid0(VALU_DEP_3) | instskip(SKIP_1) | instid1(VALU_DEP_4)
	v_mul_f16_e32 v71, v31, v62
	v_mul_f16_e32 v72, v36, v62
	;; [unrolled: 1-line block ×3, first 2 shown]
	s_delay_alu instid0(VALU_DEP_4)
	v_mul_f16_e32 v76, v68, v70
	v_mul_f16_e32 v73, v15, v64
	v_mul_f16_e32 v75, v14, v70
	v_mul_f16_e32 v77, v32, v62
	v_mul_f16_e32 v78, v40, v62
	v_mul_f16_e32 v79, v20, v64
	v_mul_f16_e32 v80, v58, v64
	v_mul_f16_e32 v81, v51, v70
	v_mul_f16_e32 v82, v67, v70
	v_mul_f16_e32 v83, v33, v62
	v_mul_f16_e32 v84, v44, v62
	v_mul_f16_e32 v85, v35, v64
	v_mul_f16_e32 v86, v46, v64
	v_mul_f16_e32 v87, v52, v70
	v_mul_f16_e32 v88, v63, v70
	v_mul_f16_e32 v89, v34, v62
	v_mul_f16_e32 v90, v45, v62
	v_mul_f16_e32 v91, v37, v64
	v_mul_f16_e32 v92, v48, v64
	v_mul_f16_e32 v93, v53, v70
	v_mul_f16_e32 v94, v65, v70
	v_mul_f16_e32 v95, v43, v62
	v_fmac_f16_e32 v71, v36, v6
	v_mul_f16_e32 v36, v59, v64
	v_fma_f16 v31, v31, v6, -v72
	v_mul_f16_e32 v72, v57, v70
	v_mul_f16_e32 v62, v61, v62
	;; [unrolled: 1-line block ×4, first 2 shown]
	v_fma_f16 v15, v15, v7, -v74
	v_fma_f16 v14, v14, v8, -v76
	v_fmac_f16_e32 v73, v60, v7
	v_fmac_f16_e32 v75, v68, v8
	;; [unrolled: 1-line block ×3, first 2 shown]
	v_fma_f16 v32, v32, v6, -v78
	v_fmac_f16_e32 v79, v58, v7
	v_fma_f16 v20, v20, v7, -v80
	v_fmac_f16_e32 v81, v67, v8
	;; [unrolled: 2-line block ×9, first 2 shown]
	v_fmac_f16_e32 v36, v69, v7
	v_fmac_f16_e32 v72, v66, v8
	v_fma_f16 v6, v43, v6, -v62
	v_fma_f16 v7, v59, v7, -v64
	;; [unrolled: 1-line block ×3, first 2 shown]
	v_sub_f16_e32 v15, v21, v15
	v_sub_f16_e32 v14, v31, v14
	;; [unrolled: 1-line block ×20, first 2 shown]
	v_fma_f16 v21, v21, 2.0, -v15
	v_fma_f16 v31, v31, 2.0, -v14
	;; [unrolled: 1-line block ×4, first 2 shown]
	v_sub_f16_e32 v46, v15, v46
	v_fma_f16 v49, v49, 2.0, -v48
	v_fma_f16 v38, v38, 2.0, -v20
	v_fma_f16 v61, v77, 2.0, -v51
	v_fma_f16 v32, v32, 2.0, -v40
	v_add_f16_e32 v40, v48, v40
	v_sub_f16_e32 v51, v20, v51
	v_fma_f16 v54, v54, 2.0, -v52
	v_fma_f16 v39, v39, 2.0, -v35
	v_fma_f16 v62, v83, 2.0, -v53
	v_fma_f16 v33, v33, 2.0, -v44
	v_add_f16_e32 v44, v52, v44
	;; [unrolled: 6-line block ×3, first 2 shown]
	v_sub_f16_e32 v58, v37, v58
	v_fma_f16 v56, v56, 2.0, -v36
	v_fma_f16 v64, v95, 2.0, -v59
	v_add_f16_e32 v14, v43, v14
	v_fma_f16 v42, v42, 2.0, -v7
	v_fma_f16 v6, v6, 2.0, -v8
	v_sub_f16_e32 v65, v21, v31
	v_sub_f16_e32 v60, v13, v60
	v_add_f16_e32 v8, v36, v8
	v_sub_f16_e32 v59, v7, v59
	v_fma_f16 v66, v15, 2.0, -v46
	v_sub_f16_e32 v15, v49, v61
	v_sub_f16_e32 v61, v38, v32
	v_fma_f16 v32, v48, 2.0, -v40
	v_fma_f16 v48, v20, 2.0, -v51
	v_sub_f16_e32 v20, v54, v62
	v_sub_f16_e32 v62, v39, v33
	v_fma_f16 v33, v52, 2.0, -v44
	v_fma_f16 v52, v35, 2.0, -v53
	v_sub_f16_e32 v35, v55, v63
	v_sub_f16_e32 v63, v41, v34
	v_fma_f16 v34, v57, 2.0, -v45
	v_fma_f16 v57, v37, 2.0, -v58
	v_sub_f16_e32 v37, v56, v64
	v_fma_f16 v31, v43, 2.0, -v14
	v_sub_f16_e32 v6, v42, v6
	v_fma_f16 v64, v21, 2.0, -v65
	v_fma_f16 v13, v13, 2.0, -v60
	;; [unrolled: 1-line block ×12, first 2 shown]
	ds_store_b16 v1, v31 offset:32
	ds_store_b16 v1, v14 offset:96
	;; [unrolled: 1-line block ×3, first 2 shown]
	ds_store_b16 v1, v13
	ds_store_b16 v2, v21
	ds_store_b16 v2, v32 offset:32
	ds_store_b16 v2, v15 offset:64
	ds_store_b16 v2, v40 offset:96
	ds_store_b16 v3, v38
	ds_store_b16 v3, v33 offset:32
	ds_store_b16 v3, v20 offset:64
	ds_store_b16 v3, v44 offset:96
	;; [unrolled: 4-line block ×4, first 2 shown]
	global_wb scope:SCOPE_SE
	s_wait_dscnt 0x0
	s_barrier_signal -1
	s_barrier_wait -1
	global_inv scope:SCOPE_SE
	ds_load_u16 v13, v26
	ds_load_u16 v31, v26 offset:768
	ds_load_u16 v38, v26 offset:2560
	ds_load_u16 v20, v26 offset:2304
	ds_load_u16 v41, v26 offset:2048
	ds_load_u16 v32, v26 offset:1792
	ds_load_u16 v43, v26 offset:1536
	ds_load_u16 v35, v26 offset:1280
	ds_load_u16 v37, v26 offset:4608
	ds_load_u16 v15, v26 offset:4352
	ds_load_u16 v39, v26 offset:4096
	ds_load_u16 v21, v26 offset:3840
	ds_load_u16 v40, v26 offset:3584
	ds_load_u16 v33, v26 offset:3328
	ds_load_u16 v42, v26 offset:3072
	ds_load_u16 v36, v26 offset:2816
	ds_load_u16 v44, v12
	ds_load_u16 v45, v10
	ds_load_u16 v14, v9
	ds_load_u16 v34, v26 offset:4864
	global_wb scope:SCOPE_SE
	s_wait_dscnt 0x0
	s_barrier_signal -1
	s_barrier_wait -1
	global_inv scope:SCOPE_SE
	ds_store_b16 v1, v64
	ds_store_b16 v1, v66 offset:32
	ds_store_b16 v1, v65 offset:64
	ds_store_b16 v1, v46 offset:96
	ds_store_b16 v2, v49
	ds_store_b16 v2, v48 offset:32
	ds_store_b16 v2, v61 offset:64
	ds_store_b16 v2, v51 offset:96
	;; [unrolled: 4-line block ×5, first 2 shown]
	global_wb scope:SCOPE_SE
	s_wait_dscnt 0x0
	s_barrier_signal -1
	s_barrier_wait -1
	global_inv scope:SCOPE_SE
	s_clause 0x2
	global_load_b128 v[1:4], v50, s[8:9] offset:240
	global_load_b128 v[5:8], v50, s[8:9] offset:256
	global_load_b32 v46, v50, s[8:9] offset:272
	v_lshrrev_b32_e32 v48, 6, v27
	v_lshrrev_b32_e32 v49, 6, v0
	s_delay_alu instid0(VALU_DEP_2) | instskip(NEXT) | instid1(VALU_DEP_2)
	v_mul_lo_u32 v48, 0x280, v48
	v_mul_u32_u24_e32 v49, 0x280, v49
	s_delay_alu instid0(VALU_DEP_1) | instskip(NEXT) | instid1(VALU_DEP_3)
	v_or_b32_e32 v49, v49, v47
	v_or_b32_e32 v47, v48, v47
	s_delay_alu instid0(VALU_DEP_2) | instskip(NEXT) | instid1(VALU_DEP_2)
	v_lshl_add_u32 v52, v49, 1, 0
	v_lshl_add_u32 v51, v47, 1, 0
	ds_load_u16 v47, v10
	ds_load_u16 v48, v12
	;; [unrolled: 1-line block ×3, first 2 shown]
	ds_load_u16 v50, v26 offset:768
	ds_load_u16 v53, v26 offset:2560
	;; [unrolled: 1-line block ×15, first 2 shown]
	ds_load_u16 v67, v9
	ds_load_u16 v68, v26 offset:4864
	global_wb scope:SCOPE_SE
	s_wait_loadcnt_dscnt 0x0
	s_barrier_signal -1
	s_barrier_wait -1
	global_inv scope:SCOPE_SE
	v_lshrrev_b32_e32 v69, 16, v1
	v_lshrrev_b32_e32 v70, 16, v2
	v_lshrrev_b32_e32 v71, 16, v3
	v_lshrrev_b32_e32 v72, 16, v4
	v_lshrrev_b32_e32 v73, 16, v5
	v_lshrrev_b32_e32 v75, 16, v7
	v_lshrrev_b32_e32 v77, 16, v46
	v_lshrrev_b32_e32 v74, 16, v6
	v_lshrrev_b32_e32 v76, 16, v8
	v_mul_f16_e32 v79, v45, v69
	v_mul_f16_e32 v81, v44, v70
	;; [unrolled: 1-line block ×18, first 2 shown]
	v_fma_f16 v47, v47, v1, -v79
	v_mul_f16_e32 v79, v58, v70
	v_fma_f16 v48, v48, v2, -v81
	v_mul_f16_e32 v81, v54, v72
	v_fma_f16 v57, v57, v3, -v83
	v_mul_f16_e32 v83, v64, v74
	v_fma_f16 v55, v55, v4, -v85
	v_mul_f16_e32 v85, v60, v76
	v_mul_f16_e32 v70, v35, v70
	v_fmac_f16_e32 v80, v44, v2
	v_mul_f16_e32 v44, v56, v71
	v_mul_f16_e32 v71, v32, v71
	v_fmac_f16_e32 v82, v43, v3
	v_mul_f16_e32 v43, v66, v73
	v_mul_f16_e32 v73, v36, v73
	;; [unrolled: 1-line block ×3, first 2 shown]
	v_fmac_f16_e32 v84, v41, v4
	v_mul_f16_e32 v41, v62, v75
	v_mul_f16_e32 v75, v21, v75
	v_fmac_f16_e32 v86, v38, v5
	v_mul_f16_e32 v38, v68, v77
	v_fma_f16 v53, v53, v5, -v87
	v_fmac_f16_e32 v90, v40, v7
	v_fma_f16 v40, v63, v7, -v91
	v_fmac_f16_e32 v94, v37, v46
	v_fma_f16 v37, v59, v46, -v95
	v_fmac_f16_e32 v78, v45, v1
	v_mul_f16_e32 v45, v50, v69
	v_mul_f16_e32 v69, v31, v69
	;; [unrolled: 1-line block ×4, first 2 shown]
	v_fmac_f16_e32 v88, v42, v6
	v_fma_f16 v42, v65, v6, -v89
	v_fmac_f16_e32 v92, v39, v8
	v_fma_f16 v39, v61, v8, -v93
	v_mul_f16_e32 v77, v34, v77
	v_fmac_f16_e32 v79, v35, v2
	v_fmac_f16_e32 v81, v20, v4
	;; [unrolled: 1-line block ×4, first 2 shown]
	v_fma_f16 v2, v58, v2, -v70
	v_fmac_f16_e32 v44, v32, v3
	v_fma_f16 v3, v56, v3, -v71
	v_fmac_f16_e32 v43, v36, v5
	v_fma_f16 v5, v66, v5, -v73
	v_fma_f16 v6, v64, v6, -v74
	v_fmac_f16_e32 v41, v21, v7
	v_fma_f16 v7, v62, v7, -v75
	v_fmac_f16_e32 v38, v34, v46
	v_add_f16_e32 v61, v86, v90
	v_sub_f16_e32 v62, v82, v86
	v_sub_f16_e32 v63, v94, v90
	v_add_f16_e32 v64, v82, v94
	v_sub_f16_e32 v65, v86, v82
	v_sub_f16_e32 v66, v90, v94
	;; [unrolled: 1-line block ×4, first 2 shown]
	v_fmac_f16_e32 v45, v31, v1
	v_fma_f16 v1, v50, v1, -v69
	v_fma_f16 v4, v54, v4, -v72
	;; [unrolled: 1-line block ×3, first 2 shown]
	v_add_f16_e32 v21, v84, v88
	v_sub_f16_e32 v31, v80, v84
	v_sub_f16_e32 v32, v92, v88
	v_add_f16_e32 v33, v80, v92
	v_sub_f16_e32 v34, v84, v80
	v_sub_f16_e32 v35, v88, v92
	;; [unrolled: 1-line block ×4, first 2 shown]
	v_fma_f16 v15, v68, v46, -v77
	v_add_f16_e32 v76, v81, v83
	v_add_f16_e32 v89, v79, v85
	v_sub_f16_e32 v91, v81, v79
	v_sub_f16_e32 v93, v83, v85
	v_add_f16_e32 v46, v55, v42
	v_add_f16_e32 v56, v48, v39
	v_sub_f16_e32 v58, v55, v48
	v_sub_f16_e32 v59, v42, v39
	v_add_f16_e32 v60, v78, v82
	v_add_f16_e32 v69, v53, v40
	;; [unrolled: 1-line block ×5, first 2 shown]
	v_fma_f16 v61, -0.5, v61, v78
	v_fmac_f16_e32 v78, -0.5, v64
	v_sub_f16_e32 v64, v44, v43
	v_add_f16_e32 v65, v65, v66
	v_sub_f16_e32 v66, v38, v41
	v_add_f16_e32 v70, v70, v71
	v_add_f16_e32 v71, v44, v38
	;; [unrolled: 1-line block ×5, first 2 shown]
	v_fma_f16 v21, -0.5, v21, v13
	v_fmac_f16_e32 v13, -0.5, v33
	v_sub_f16_e32 v33, v2, v4
	v_add_f16_e32 v34, v34, v35
	v_sub_f16_e32 v35, v8, v6
	v_add_f16_e32 v50, v50, v54
	v_add_f16_e32 v54, v2, v8
	;; [unrolled: 1-line block ×4, first 2 shown]
	v_fma_f16 v76, -0.5, v76, v14
	v_fmac_f16_e32 v14, -0.5, v89
	v_sub_f16_e32 v89, v3, v5
	v_add_f16_e32 v91, v91, v93
	v_sub_f16_e32 v93, v15, v7
	v_add_f16_e32 v68, v47, v57
	v_sub_f16_e32 v73, v53, v57
	v_sub_f16_e32 v74, v40, v37
	;; [unrolled: 1-line block ×4, first 2 shown]
	v_fma_f16 v46, -0.5, v46, v49
	v_fmac_f16_e32 v49, -0.5, v56
	v_sub_f16_e32 v56, v4, v2
	v_add_f16_e32 v58, v58, v59
	v_sub_f16_e32 v59, v6, v8
	v_fma_f16 v69, -0.5, v69, v47
	v_fmac_f16_e32 v47, -0.5, v72
	v_add_f16_e32 v72, v45, v44
	v_add_f16_e32 v64, v64, v66
	v_sub_f16_e32 v66, v5, v3
	v_fma_f16 v63, -0.5, v63, v45
	v_fmac_f16_e32 v45, -0.5, v71
	v_sub_f16_e32 v71, v7, v15
	v_add_f16_e32 v95, v67, v2
	v_add_f16_e32 v33, v33, v35
	;; [unrolled: 1-line block ×3, first 2 shown]
	v_fma_f16 v32, -0.5, v32, v67
	v_fmac_f16_e32 v67, -0.5, v54
	v_add_f16_e32 v54, v3, v15
	v_add_f16_e32 v89, v89, v93
	v_sub_f16_e32 v93, v55, v42
	v_add_f16_e32 v36, v36, v55
	v_add_f16_e32 v60, v60, v86
	;; [unrolled: 1-line block ×3, first 2 shown]
	v_sub_f16_e32 v74, v43, v44
	v_add_f16_e32 v77, v77, v87
	v_sub_f16_e32 v87, v41, v38
	v_add_f16_e32 v56, v56, v59
	v_add_f16_e32 v59, v1, v3
	v_sub_f16_e32 v48, v48, v39
	v_add_f16_e32 v66, v66, v71
	v_sub_f16_e32 v71, v53, v40
	v_sub_f16_e32 v82, v82, v94
	v_add_f16_e32 v53, v68, v53
	v_add_f16_e32 v75, v75, v81
	v_fma_f16 v35, -0.5, v35, v1
	v_fmac_f16_e32 v1, -0.5, v54
	v_sub_f16_e32 v54, v86, v90
	v_add_f16_e32 v20, v20, v84
	v_sub_f16_e32 v44, v44, v38
	v_sub_f16_e32 v68, v43, v41
	v_add_f16_e32 v36, v36, v42
	v_add_f16_e32 v42, v60, v90
	v_fmamk_f16 v60, v93, 0x3b9c, v13
	v_fmac_f16_e32 v13, 0xbb9c, v93
	v_add_f16_e32 v74, v74, v87
	v_sub_f16_e32 v87, v84, v88
	v_sub_f16_e32 v57, v57, v37
	;; [unrolled: 1-line block ×4, first 2 shown]
	v_add_f16_e32 v4, v95, v4
	v_add_f16_e32 v5, v59, v5
	;; [unrolled: 1-line block ×3, first 2 shown]
	v_fmamk_f16 v53, v48, 0xbb9c, v21
	v_fmac_f16_e32 v21, 0x3b9c, v48
	v_add_f16_e32 v59, v75, v83
	v_fmamk_f16 v75, v82, 0x3b9c, v69
	v_sub_f16_e32 v79, v79, v85
	v_sub_f16_e32 v55, v81, v83
	v_fmamk_f16 v81, v54, 0xbb9c, v47
	v_fmac_f16_e32 v47, 0x3b9c, v54
	v_sub_f16_e32 v80, v80, v92
	v_sub_f16_e32 v3, v3, v15
	v_add_f16_e32 v43, v72, v43
	v_add_f16_e32 v20, v20, v88
	v_fmac_f16_e32 v69, 0xbb9c, v82
	v_fmac_f16_e32 v60, 0xb8b4, v48
	;; [unrolled: 1-line block ×3, first 2 shown]
	v_fmamk_f16 v48, v44, 0x3b9c, v35
	v_fmac_f16_e32 v35, 0xbb9c, v44
	v_add_f16_e32 v36, v36, v39
	v_fmamk_f16 v39, v68, 0xbb9c, v1
	v_fmac_f16_e32 v1, 0x3b9c, v68
	v_sub_f16_e32 v2, v2, v8
	v_add_f16_e32 v4, v4, v6
	v_add_f16_e32 v5, v5, v7
	v_fmamk_f16 v7, v57, 0xbb9c, v61
	v_fmamk_f16 v88, v84, 0x3b9c, v14
	v_fmac_f16_e32 v14, 0xbb9c, v84
	v_fmac_f16_e32 v53, 0xb8b4, v93
	;; [unrolled: 1-line block ×3, first 2 shown]
	v_fmamk_f16 v93, v86, 0x3b9c, v45
	v_fmac_f16_e32 v45, 0xbb9c, v86
	v_fmac_f16_e32 v75, 0x38b4, v54
	v_fmamk_f16 v72, v71, 0x3b9c, v78
	v_fmamk_f16 v90, v79, 0x3b9c, v32
	v_fmac_f16_e32 v32, 0xbb9c, v79
	v_fmac_f16_e32 v81, 0x38b4, v82
	;; [unrolled: 1-line block ×4, first 2 shown]
	v_fmamk_f16 v6, v80, 0x3b9c, v46
	v_fmac_f16_e32 v46, 0xbb9c, v80
	v_add_f16_e32 v41, v43, v41
	v_fmac_f16_e32 v61, 0x3b9c, v57
	v_add_f16_e32 v20, v20, v92
	v_fmamk_f16 v92, v3, 0xbb9c, v63
	v_fmac_f16_e32 v63, 0x3b9c, v3
	v_fmac_f16_e32 v69, 0xb8b4, v54
	;; [unrolled: 1-line block ×6, first 2 shown]
	v_fmamk_f16 v83, v2, 0xbb9c, v76
	v_fmac_f16_e32 v76, 0x3b9c, v2
	v_fmac_f16_e32 v7, 0xb8b4, v71
	;; [unrolled: 1-line block ×4, first 2 shown]
	v_add_f16_e32 v2, v4, v8
	v_fmac_f16_e32 v93, 0xb8b4, v3
	v_fmac_f16_e32 v45, 0x38b4, v3
	v_add_f16_e32 v3, v5, v15
	v_fmac_f16_e32 v75, 0x34f2, v70
	v_fmac_f16_e32 v72, 0xb8b4, v57
	;; [unrolled: 1-line block ×7, first 2 shown]
	v_fmamk_f16 v43, v87, 0xbb9c, v49
	v_fmac_f16_e32 v49, 0x3b9c, v87
	v_fmac_f16_e32 v6, 0x38b4, v87
	;; [unrolled: 1-line block ×3, first 2 shown]
	v_add_f16_e32 v42, v42, v94
	v_fmac_f16_e32 v61, 0x38b4, v71
	v_add_f16_e32 v37, v40, v37
	v_add_f16_e32 v40, v59, v85
	;; [unrolled: 1-line block ×3, first 2 shown]
	v_fmac_f16_e32 v92, 0xb8b4, v86
	v_fmac_f16_e32 v63, 0x38b4, v86
	;; [unrolled: 1-line block ×7, first 2 shown]
	v_fmamk_f16 v95, v55, 0xbb9c, v67
	v_fmac_f16_e32 v67, 0x3b9c, v55
	v_fmac_f16_e32 v7, 0x34f2, v62
	v_add_f16_e32 v54, v2, v3
	v_sub_f16_e32 v2, v2, v3
	v_mul_f16_e32 v3, 0xb8b4, v75
	v_fmac_f16_e32 v72, 0x34f2, v65
	v_fmac_f16_e32 v90, 0x34f2, v33
	v_fmac_f16_e32 v32, 0x34f2, v33
	v_mul_f16_e32 v33, 0xbb9c, v81
	v_fmac_f16_e32 v60, 0x34f2, v34
	v_fmac_f16_e32 v13, 0x34f2, v34
	v_fmac_f16_e32 v78, 0x34f2, v65
	;; [unrolled: 4-line block ×3, first 2 shown]
	v_fmac_f16_e32 v76, 0x38b4, v84
	v_fmac_f16_e32 v53, 0x34f2, v31
	;; [unrolled: 1-line block ×6, first 2 shown]
	v_add_f16_e32 v5, v20, v42
	v_add_f16_e32 v8, v36, v37
	v_sub_f16_e32 v15, v20, v42
	v_sub_f16_e32 v20, v36, v37
	v_fmac_f16_e32 v92, 0x34f2, v64
	v_fmac_f16_e32 v63, 0x34f2, v64
	;; [unrolled: 1-line block ×4, first 2 shown]
	v_add_f16_e32 v31, v40, v4
	v_sub_f16_e32 v4, v40, v4
	v_mul_f16_e32 v36, 0xb8b4, v69
	v_mul_f16_e32 v37, 0x3a79, v75
	;; [unrolled: 1-line block ×9, first 2 shown]
	v_fmac_f16_e32 v95, 0x38b4, v79
	v_fmac_f16_e32 v67, 0xb8b4, v79
	v_mul_f16_e32 v48, 0x3a79, v48
	v_mul_f16_e32 v39, 0x34f2, v39
	;; [unrolled: 1-line block ×4, first 2 shown]
	v_fmac_f16_e32 v3, 0x3a79, v7
	v_fmac_f16_e32 v33, 0x34f2, v72
	v_fmac_f16_e32 v34, 0xb4f2, v78
	v_fmac_f16_e32 v43, 0x34f2, v58
	v_fmac_f16_e32 v49, 0x34f2, v58
	v_fmac_f16_e32 v83, 0x34f2, v77
	v_fmac_f16_e32 v76, 0x34f2, v77
	v_fmac_f16_e32 v88, 0x34f2, v91
	v_fmac_f16_e32 v14, 0x34f2, v91
	v_fmac_f16_e32 v36, 0xba79, v61
	v_fmac_f16_e32 v37, 0x38b4, v7
	v_fmac_f16_e32 v38, 0x3b9c, v72
	v_fmac_f16_e32 v40, 0x3b9c, v78
	v_fmac_f16_e32 v41, 0x38b4, v61
	v_fmac_f16_e32 v42, 0x3a79, v92
	v_fmac_f16_e32 v44, 0x34f2, v93
	v_fmac_f16_e32 v47, 0xb4f2, v45
	v_fmac_f16_e32 v50, 0xba79, v63
	v_fmac_f16_e32 v95, 0x34f2, v56
	v_fmac_f16_e32 v67, 0x34f2, v56
	v_fmac_f16_e32 v48, 0x38b4, v92
	v_fmac_f16_e32 v39, 0x3b9c, v93
	v_fmac_f16_e32 v1, 0x3b9c, v45
	v_fmac_f16_e32 v35, 0x38b4, v63
	v_add_f16_e32 v7, v53, v3
	v_add_f16_e32 v45, v60, v33
	;; [unrolled: 1-line block ×8, first 2 shown]
	v_sub_f16_e32 v3, v53, v3
	v_sub_f16_e32 v33, v60, v33
	;; [unrolled: 1-line block ×8, first 2 shown]
	v_add_f16_e32 v34, v83, v42
	v_add_f16_e32 v36, v88, v44
	;; [unrolled: 1-line block ×4, first 2 shown]
	v_sub_f16_e32 v40, v83, v42
	v_sub_f16_e32 v41, v88, v44
	;; [unrolled: 1-line block ×3, first 2 shown]
	v_add_f16_e32 v63, v90, v48
	v_add_f16_e32 v64, v95, v39
	;; [unrolled: 1-line block ×4, first 2 shown]
	v_sub_f16_e32 v14, v14, v47
	v_sub_f16_e32 v68, v90, v48
	;; [unrolled: 1-line block ×5, first 2 shown]
	ds_store_b16 v52, v5
	ds_store_b16 v52, v7 offset:128
	ds_store_b16 v52, v45 offset:256
	;; [unrolled: 1-line block ×9, first 2 shown]
	ds_store_b16 v51, v31
	ds_store_b16 v51, v34 offset:128
	ds_store_b16 v51, v36 offset:256
	;; [unrolled: 1-line block ×9, first 2 shown]
	global_wb scope:SCOPE_SE
	s_wait_dscnt 0x0
	s_barrier_signal -1
	s_barrier_wait -1
	global_inv scope:SCOPE_SE
	ds_load_u16 v41, v26
	ds_load_u16 v46, v26 offset:1280
	ds_load_u16 v33, v26 offset:1536
	;; [unrolled: 1-line block ×6, first 2 shown]
	ds_load_u16 v31, v9
	ds_load_u16 v32, v10
	;; [unrolled: 1-line block ×4, first 2 shown]
	ds_load_u16 v34, v26 offset:2816
	ds_load_u16 v49, v26 offset:2560
	;; [unrolled: 1-line block ×9, first 2 shown]
	global_wb scope:SCOPE_SE
	s_wait_dscnt 0x0
	s_barrier_signal -1
	s_barrier_wait -1
	global_inv scope:SCOPE_SE
	ds_store_b16 v52, v8
	ds_store_b16 v52, v57 offset:128
	ds_store_b16 v52, v58 offset:256
	;; [unrolled: 1-line block ×9, first 2 shown]
	ds_store_b16 v51, v54
	ds_store_b16 v51, v63 offset:128
	ds_store_b16 v51, v64 offset:256
	;; [unrolled: 1-line block ×9, first 2 shown]
	global_wb scope:SCOPE_SE
	s_wait_dscnt 0x0
	s_barrier_signal -1
	s_barrier_wait -1
	global_inv scope:SCOPE_SE
	s_and_saveexec_b32 s2, vcc_lo
	s_cbranch_execz .LBB0_15
; %bb.14:
	v_mul_u32_u24_e32 v1, 3, v0
	v_mul_i32_i24_e32 v20, 3, v30
	v_dual_mov_b32 v21, 0 :: v_dual_add_nc_u32 v54, 0x100, v0
	v_mul_i32_i24_e32 v30, -6, v30
	s_delay_alu instid0(VALU_DEP_4) | instskip(SKIP_1) | instid1(VALU_DEP_4)
	v_lshlrev_b32_e32 v3, 2, v1
	v_add_nc_u32_e32 v53, 0x80, v0
	v_lshlrev_b64_e32 v[1:2], 2, v[20:21]
	v_mul_i32_i24_e32 v20, 3, v29
	v_mul_i32_i24_e32 v29, -6, v29
	global_load_b96 v[13:15], v3, s[8:9] offset:2544
	v_mul_i32_i24_e32 v51, -6, v28
	v_mul_hi_u32 v52, 0xcccccccd, v0
	v_add_co_u32 v1, vcc_lo, s8, v1
	s_wait_alu 0xfffd
	v_add_co_ci_u32_e32 v2, vcc_lo, s9, v2, vcc_lo
	v_add_nc_u32_e32 v59, v25, v30
	v_mov_b32_e32 v30, v21
	v_mul_hi_u32 v60, 0xcccccccd, v53
	global_load_b96 v[10:12], v[1:2], off offset:2544
	v_lshlrev_b64_e32 v[1:2], 2, v[20:21]
	v_mul_i32_i24_e32 v20, 3, v28
	v_mul_lo_u32 v28, s0, v19
	v_dual_mov_b32 v29, v21 :: v_dual_add_nc_u32 v24, v24, v29
	v_add_nc_u32_e32 v51, v23, v51
	v_add_co_u32 v1, vcc_lo, s8, v1
	s_wait_alu 0xfffd
	v_add_co_ci_u32_e32 v2, vcc_lo, s9, v2, vcc_lo
	v_mul_hi_u32 v61, 0xcccccccd, v54
	v_dual_mov_b32 v23, v21 :: v_dual_add_nc_u32 v56, 0x180, v0
	global_load_b96 v[7:9], v[1:2], off offset:2544
	v_lshlrev_b64_e32 v[1:2], 2, v[20:21]
	v_mul_i32_i24_e32 v20, 3, v27
	v_mul_i32_i24_e32 v27, -6, v27
	v_dual_mov_b32 v25, v21 :: v_dual_add_nc_u32 v58, 0x200, v0
	v_mul_hi_u32 v62, 0xcccccccd, v56
	v_add_co_u32 v1, vcc_lo, s8, v1
	s_wait_alu 0xfffd
	v_add_co_ci_u32_e32 v2, vcc_lo, s9, v2, vcc_lo
	v_dual_mov_b32 v27, v21 :: v_dual_add_nc_u32 v22, v22, v27
	v_lshlrev_b64_e32 v[16:17], 2, v[16:17]
	global_load_b96 v[4:6], v[1:2], off offset:2544
	v_lshlrev_b64_e32 v[1:2], 2, v[20:21]
	v_mul_lo_u32 v20, s1, v18
	v_mad_co_u64_u32 v[18:19], null, s0, v18, 0
	v_mul_hi_u32 v63, 0xcccccccd, v58
	v_lshrrev_b32_e32 v64, 9, v62
	v_add_co_u32 v1, vcc_lo, s8, v1
	s_wait_alu 0xfffd
	v_add_co_ci_u32_e32 v2, vcc_lo, s9, v2, vcc_lo
	v_add3_u32 v19, v19, v28, v20
	v_lshrrev_b32_e32 v20, 9, v52
	v_lshrrev_b32_e32 v28, 9, v61
	global_load_b96 v[1:3], v[1:2], off offset:2544
	ds_load_u16 v72, v26 offset:2816
	ds_load_u16 v73, v26 offset:2560
	;; [unrolled: 1-line block ×7, first 2 shown]
	ds_load_u16 v79, v26
	ds_load_u16 v80, v26 offset:4864
	ds_load_u16 v81, v26 offset:4608
	;; [unrolled: 1-line block ×8, first 2 shown]
	ds_load_u16 v88, v59
	ds_load_u16 v89, v24
	;; [unrolled: 1-line block ×4, first 2 shown]
	v_lshrrev_b32_e32 v22, 9, v60
	v_mul_u32_u24_e32 v20, 0x280, v20
	v_lshlrev_b64_e32 v[18:19], 2, v[18:19]
	v_mul_u32_u24_e32 v51, 0x280, v28
	v_mul_u32_u24_e32 v52, 0x280, v64
	;; [unrolled: 1-line block ×3, first 2 shown]
	v_sub_nc_u32_e32 v0, v0, v20
	v_mov_b32_e32 v55, v21
	v_add_co_u32 v18, vcc_lo, s6, v18
	s_delay_alu instid0(VALU_DEP_4) | instskip(NEXT) | instid1(VALU_DEP_4)
	v_sub_nc_u32_e32 v20, v53, v24
	v_lshlrev_b32_e32 v0, 2, v0
	s_wait_alu 0xfffd
	v_add_co_ci_u32_e32 v19, vcc_lo, s7, v19, vcc_lo
	v_add_co_u32 v92, vcc_lo, v18, v16
	v_mad_u32_u24 v20, 0xa00, v22, v20
	v_mov_b32_e32 v57, v21
	v_sub_nc_u32_e32 v60, v54, v51
	s_wait_alu 0xfffd
	v_add_co_ci_u32_e32 v93, vcc_lo, v19, v17, vcc_lo
	v_add_nc_u32_e32 v22, 0x280, v20
	v_lshlrev_b64_e32 v[16:17], 2, v[20:21]
	v_add_nc_u32_e32 v24, 0x500, v20
	v_add_nc_u32_e32 v20, 0x780, v20
	v_lshrrev_b32_e32 v70, 9, v63
	v_add_co_u32 v18, vcc_lo, v92, v0
	v_lshlrev_b64_e32 v[22:23], 2, v[22:23]
	s_wait_alu 0xfffd
	v_add_co_ci_u32_e32 v19, vcc_lo, 0, v93, vcc_lo
	v_lshlrev_b64_e32 v[53:54], 2, v[20:21]
	v_mad_u32_u24 v20, 0xa00, v28, v60
	v_sub_nc_u32_e32 v56, v56, v52
	v_lshlrev_b64_e32 v[51:52], 2, v[24:25]
	v_add_co_u32 v16, vcc_lo, v92, v16
	v_mul_u32_u24_e32 v59, 0x280, v70
	s_wait_alu 0xfffd
	v_add_co_ci_u32_e32 v17, vcc_lo, v93, v17, vcc_lo
	v_add_co_u32 v22, vcc_lo, v92, v22
	v_dual_mov_b32 v26, v21 :: v_dual_add_nc_u32 v25, 0x280, v20
	s_wait_alu 0xfffd
	v_add_co_ci_u32_e32 v23, vcc_lo, v93, v23, vcc_lo
	v_sub_nc_u32_e32 v71, v58, v59
	v_lshlrev_b64_e32 v[58:59], 2, v[20:21]
	v_add_nc_u32_e32 v28, 0x500, v20
	v_add_nc_u32_e32 v20, 0x780, v20
	v_add_co_u32 v51, vcc_lo, v92, v51
	s_wait_alu 0xfffd
	v_add_co_ci_u32_e32 v52, vcc_lo, v93, v52, vcc_lo
	v_add_co_u32 v60, vcc_lo, v92, v53
	v_lshlrev_b64_e32 v[24:25], 2, v[25:26]
	s_wait_alu 0xfffd
	v_add_co_ci_u32_e32 v61, vcc_lo, v93, v54, vcc_lo
	v_lshlrev_b64_e32 v[62:63], 2, v[20:21]
	v_mad_u32_u24 v20, 0xa00, v64, v56
	v_lshlrev_b64_e32 v[53:54], 2, v[28:29]
	v_add_co_u32 v58, vcc_lo, v92, v58
	s_wait_alu 0xfffd
	v_add_co_ci_u32_e32 v59, vcc_lo, v93, v59, vcc_lo
	v_add_co_u32 v24, vcc_lo, v92, v24
	v_add_nc_u32_e32 v26, 0x280, v20
	s_wait_alu 0xfffd
	v_add_co_ci_u32_e32 v25, vcc_lo, v93, v25, vcc_lo
	v_lshlrev_b64_e32 v[64:65], 2, v[20:21]
	v_add_nc_u32_e32 v29, 0x500, v20
	v_add_nc_u32_e32 v20, 0x780, v20
	v_add_co_u32 v66, vcc_lo, v92, v53
	s_wait_alu 0xfffd
	v_add_co_ci_u32_e32 v67, vcc_lo, v93, v54, vcc_lo
	v_add_co_u32 v62, vcc_lo, v92, v62
	v_lshlrev_b64_e32 v[26:27], 2, v[26:27]
	s_wait_alu 0xfffd
	v_add_co_ci_u32_e32 v63, vcc_lo, v93, v63, vcc_lo
	v_lshlrev_b64_e32 v[68:69], 2, v[20:21]
	v_mad_u32_u24 v20, 0xa00, v70, v71
	v_lshlrev_b64_e32 v[28:29], 2, v[29:30]
	v_add_co_u32 v64, vcc_lo, v92, v64
	s_wait_alu 0xfffd
	v_add_co_ci_u32_e32 v65, vcc_lo, v93, v65, vcc_lo
	v_add_co_u32 v26, vcc_lo, v92, v26
	v_add_nc_u32_e32 v54, 0x280, v20
	s_wait_alu 0xfffd
	v_add_co_ci_u32_e32 v27, vcc_lo, v93, v27, vcc_lo
	v_lshlrev_b64_e32 v[70:71], 2, v[20:21]
	v_add_co_u32 v28, vcc_lo, v92, v28
	v_add_nc_u32_e32 v56, 0x500, v20
	s_wait_alu 0xfffd
	v_add_co_ci_u32_e32 v29, vcc_lo, v93, v29, vcc_lo
	v_add_co_u32 v68, vcc_lo, v92, v68
	v_lshlrev_b64_e32 v[53:54], 2, v[54:55]
	v_add_nc_u32_e32 v20, 0x780, v20
	s_wait_alu 0xfffd
	v_add_co_ci_u32_e32 v69, vcc_lo, v93, v69, vcc_lo
	v_lshlrev_b64_e32 v[55:56], 2, v[56:57]
	v_add_co_u32 v70, vcc_lo, v92, v70
	s_wait_alu 0xfffd
	v_add_co_ci_u32_e32 v71, vcc_lo, v93, v71, vcc_lo
	v_lshlrev_b64_e32 v[20:21], 2, v[20:21]
	v_add_co_u32 v53, vcc_lo, v92, v53
	s_wait_alu 0xfffd
	v_add_co_ci_u32_e32 v54, vcc_lo, v93, v54, vcc_lo
	v_add_co_u32 v55, vcc_lo, v92, v55
	s_wait_alu 0xfffd
	v_add_co_ci_u32_e32 v56, vcc_lo, v93, v56, vcc_lo
	;; [unrolled: 3-line block ×3, first 2 shown]
	s_wait_loadcnt 0x4
	v_lshrrev_b32_e32 v0, 16, v14
	v_lshrrev_b32_e32 v30, 16, v13
	;; [unrolled: 1-line block ×3, first 2 shown]
	s_wait_dscnt 0x12
	s_delay_alu instid0(VALU_DEP_3) | instskip(NEXT) | instid1(VALU_DEP_3)
	v_mul_f16_e32 v92, v0, v73
	v_mul_f16_e32 v93, v46, v30
	;; [unrolled: 1-line block ×4, first 2 shown]
	s_wait_dscnt 0xd
	v_mul_f16_e32 v30, v78, v30
	s_wait_dscnt 0x7
	v_mul_f16_e32 v57, v84, v57
	s_wait_loadcnt 0x3
	v_lshrrev_b32_e32 v95, 16, v11
	v_lshrrev_b32_e32 v96, 16, v10
	;; [unrolled: 1-line block ×3, first 2 shown]
	v_fmac_f16_e32 v92, v49, v14
	v_fma_f16 v49, v13, v78, -v93
	v_fma_f16 v78, v15, v84, -v94
	;; [unrolled: 1-line block ×3, first 2 shown]
	v_fmac_f16_e32 v30, v46, v13
	v_fmac_f16_e32 v57, v50, v15
	s_wait_dscnt 0x6
	v_mul_f16_e32 v13, v95, v85
	v_mul_f16_e32 v14, v45, v96
	;; [unrolled: 1-line block ×6, first 2 shown]
	s_wait_loadcnt 0x2
	v_lshrrev_b32_e32 v84, 16, v8
	v_lshrrev_b32_e32 v93, 16, v7
	;; [unrolled: 1-line block ×3, first 2 shown]
	v_sub_f16_e32 v92, v41, v92
	v_sub_f16_e32 v78, v49, v78
	;; [unrolled: 1-line block ×4, first 2 shown]
	v_fmac_f16_e32 v13, v48, v11
	v_fma_f16 v14, v10, v74, -v14
	v_fma_f16 v46, v12, v80, -v46
	;; [unrolled: 1-line block ×3, first 2 shown]
	v_fmac_f16_e32 v50, v45, v10
	v_fmac_f16_e32 v73, v47, v12
	s_wait_dscnt 0x5
	v_mul_f16_e32 v10, v84, v86
	v_mul_f16_e32 v12, v42, v93
	;; [unrolled: 1-line block ×6, first 2 shown]
	s_wait_loadcnt 0x1
	v_lshrrev_b32_e32 v74, 16, v4
	v_lshrrev_b32_e32 v80, 16, v5
	v_lshrrev_b32_e32 v84, 16, v6
	v_add_f16_e32 v85, v92, v78
	v_sub_f16_e32 v93, v0, v57
	v_fma_f16 v41, v41, 2.0, -v92
	v_fma_f16 v30, v30, 2.0, -v57
	v_fma_f16 v57, v79, 2.0, -v0
	v_fma_f16 v49, v49, 2.0, -v78
	v_fmac_f16_e32 v10, v43, v8
	v_fma_f16 v12, v7, v75, -v12
	v_fma_f16 v43, v9, v81, -v45
	;; [unrolled: 1-line block ×3, first 2 shown]
	v_fmac_f16_e32 v47, v42, v7
	v_fmac_f16_e32 v48, v44, v9
	v_sub_f16_e32 v7, v39, v13
	v_sub_f16_e32 v9, v14, v46
	;; [unrolled: 1-line block ×3, first 2 shown]
	s_wait_dscnt 0x4
	v_mul_f16_e32 v15, v80, v87
	v_mul_f16_e32 v42, v37, v74
	;; [unrolled: 1-line block ×6, first 2 shown]
	s_wait_loadcnt 0x0
	v_lshrrev_b32_e32 v74, 16, v1
	v_lshrrev_b32_e32 v75, 16, v2
	;; [unrolled: 1-line block ×3, first 2 shown]
	s_wait_dscnt 0x3
	v_sub_f16_e32 v11, v88, v11
	v_fma_f16 v79, v92, 2.0, -v85
	v_fma_f16 v0, v0, 2.0, -v93
	v_sub_f16_e32 v30, v41, v30
	v_sub_f16_e32 v49, v57, v49
	v_fmac_f16_e32 v15, v40, v5
	v_fma_f16 v40, v4, v76, -v42
	v_fma_f16 v42, v6, v82, -v44
	v_fma_f16 v44, v50, 2.0, -v13
	v_fma_f16 v39, v39, 2.0, -v7
	v_sub_f16_e32 v10, v36, v10
	v_sub_f16_e32 v43, v12, v43
	v_fma_f16 v5, v5, v87, -v45
	v_fmac_f16_e32 v46, v37, v4
	v_fmac_f16_e32 v73, v38, v6
	v_mul_f16_e32 v4, v75, v72
	v_mul_f16_e32 v6, v33, v74
	;; [unrolled: 1-line block ×6, first 2 shown]
	v_sub_f16_e32 v48, v47, v48
	v_fma_f16 v14, v14, 2.0, -v9
	v_fma_f16 v50, v88, 2.0, -v11
	;; [unrolled: 1-line block ×4, first 2 shown]
	v_pack_b32_f16 v0, v79, v0
	v_pack_b32_f16 v30, v30, v49
	v_sub_f16_e32 v44, v39, v44
	v_add_f16_e32 v49, v10, v43
	v_fma_f16 v12, v12, 2.0, -v43
	v_sub_f16_e32 v15, v32, v15
	v_sub_f16_e32 v42, v40, v42
	s_wait_dscnt 0x1
	v_sub_f16_e32 v5, v90, v5
	v_sub_f16_e32 v43, v46, v73
	v_fmac_f16_e32 v4, v34, v2
	v_fma_f16 v6, v1, v77, -v6
	v_fma_f16 v34, v3, v83, -v37
	;; [unrolled: 1-line block ×3, first 2 shown]
	v_fmac_f16_e32 v45, v33, v1
	v_fmac_f16_e32 v74, v35, v3
	v_pack_b32_f16 v80, v85, v93
	v_sub_f16_e32 v8, v89, v8
	v_fma_f16 v36, v36, 2.0, -v10
	v_fma_f16 v47, v47, 2.0, -v48
	v_sub_f16_e32 v14, v50, v14
	v_pack_b32_f16 v1, v41, v57
	s_clause 0x2
	global_store_b32 v[18:19], v0, off offset:2560
	global_store_b32 v[18:19], v80, off offset:7680
	;; [unrolled: 1-line block ×3, first 2 shown]
	v_fma_f16 v0, v39, 2.0, -v44
	v_fma_f16 v32, v32, 2.0, -v15
	;; [unrolled: 1-line block ×5, first 2 shown]
	v_sub_f16_e32 v4, v31, v4
	v_sub_f16_e32 v34, v6, v34
	s_wait_dscnt 0x0
	v_sub_f16_e32 v2, v91, v2
	v_sub_f16_e32 v40, v45, v74
	v_add_f16_e32 v9, v7, v9
	v_sub_f16_e32 v13, v11, v13
	v_sub_f16_e32 v75, v8, v48
	v_fma_f16 v48, v89, 2.0, -v8
	v_sub_f16_e32 v30, v36, v47
	v_fma_f16 v3, v50, 2.0, -v14
	v_add_f16_e32 v33, v15, v42
	v_sub_f16_e32 v35, v5, v43
	global_store_b32 v[18:19], v1, off
	v_sub_f16_e32 v18, v32, v37
	v_sub_f16_e32 v19, v38, v39
	;; [unrolled: 1-line block ×3, first 2 shown]
	v_fma_f16 v31, v31, 2.0, -v4
	v_fma_f16 v39, v45, 2.0, -v40
	;; [unrolled: 1-line block ×6, first 2 shown]
	v_sub_f16_e32 v12, v48, v12
	v_fma_f16 v1, v36, 2.0, -v30
	v_add_f16_e32 v36, v4, v34
	v_fma_f16 v15, v15, 2.0, -v33
	v_fma_f16 v5, v5, 2.0, -v35
	v_pack_b32_f16 v0, v0, v3
	v_sub_f16_e32 v3, v31, v39
	v_sub_f16_e32 v6, v40, v6
	v_fma_f16 v10, v10, 2.0, -v49
	v_fma_f16 v8, v8, 2.0, -v75
	v_pack_b32_f16 v7, v7, v11
	v_pack_b32_f16 v11, v44, v14
	v_fma_f16 v14, v48, 2.0, -v12
	v_fma_f16 v4, v4, 2.0, -v36
	;; [unrolled: 1-line block ×3, first 2 shown]
	v_pack_b32_f16 v5, v15, v5
	v_fma_f16 v15, v31, 2.0, -v3
	v_fma_f16 v31, v40, 2.0, -v6
	v_pack_b32_f16 v8, v10, v8
	v_pack_b32_f16 v10, v30, v12
	v_fma_f16 v12, v32, 2.0, -v18
	v_fma_f16 v30, v38, 2.0, -v19
	v_pack_b32_f16 v2, v4, v2
	v_pack_b32_f16 v1, v1, v14
	;; [unrolled: 1-line block ×9, first 2 shown]
	s_clause 0x7
	global_store_b32 v[22:23], v2, off
	global_store_b32 v[60:61], v32, off
	global_store_b32 v[51:52], v3, off
	global_store_b32 v[16:17], v4, off
	global_store_b32 v[58:59], v6, off
	global_store_b32 v[24:25], v5, off
	global_store_b32 v[66:67], v18, off
	global_store_b32 v[62:63], v33, off
	v_pack_b32_f16 v2, v9, v13
	s_clause 0x7
	global_store_b32 v[64:65], v1, off
	global_store_b32 v[26:27], v8, off
	;; [unrolled: 1-line block ×8, first 2 shown]
.LBB0_15:
	s_nop 0
	s_sendmsg sendmsg(MSG_DEALLOC_VGPRS)
	s_endpgm
	.section	.rodata,"a",@progbits
	.p2align	6, 0x0
	.amdhsa_kernel fft_rtc_back_len2560_factors_4_4_4_10_4_wgs_128_tpt_128_halfLds_half_op_CI_CI_unitstride_sbrr_dirReg
		.amdhsa_group_segment_fixed_size 0
		.amdhsa_private_segment_fixed_size 0
		.amdhsa_kernarg_size 104
		.amdhsa_user_sgpr_count 2
		.amdhsa_user_sgpr_dispatch_ptr 0
		.amdhsa_user_sgpr_queue_ptr 0
		.amdhsa_user_sgpr_kernarg_segment_ptr 1
		.amdhsa_user_sgpr_dispatch_id 0
		.amdhsa_user_sgpr_private_segment_size 0
		.amdhsa_wavefront_size32 1
		.amdhsa_uses_dynamic_stack 0
		.amdhsa_enable_private_segment 0
		.amdhsa_system_sgpr_workgroup_id_x 1
		.amdhsa_system_sgpr_workgroup_id_y 0
		.amdhsa_system_sgpr_workgroup_id_z 0
		.amdhsa_system_sgpr_workgroup_info 0
		.amdhsa_system_vgpr_workitem_id 0
		.amdhsa_next_free_vgpr 98
		.amdhsa_next_free_sgpr 39
		.amdhsa_reserve_vcc 1
		.amdhsa_float_round_mode_32 0
		.amdhsa_float_round_mode_16_64 0
		.amdhsa_float_denorm_mode_32 3
		.amdhsa_float_denorm_mode_16_64 3
		.amdhsa_fp16_overflow 0
		.amdhsa_workgroup_processor_mode 1
		.amdhsa_memory_ordered 1
		.amdhsa_forward_progress 0
		.amdhsa_round_robin_scheduling 0
		.amdhsa_exception_fp_ieee_invalid_op 0
		.amdhsa_exception_fp_denorm_src 0
		.amdhsa_exception_fp_ieee_div_zero 0
		.amdhsa_exception_fp_ieee_overflow 0
		.amdhsa_exception_fp_ieee_underflow 0
		.amdhsa_exception_fp_ieee_inexact 0
		.amdhsa_exception_int_div_zero 0
	.end_amdhsa_kernel
	.text
.Lfunc_end0:
	.size	fft_rtc_back_len2560_factors_4_4_4_10_4_wgs_128_tpt_128_halfLds_half_op_CI_CI_unitstride_sbrr_dirReg, .Lfunc_end0-fft_rtc_back_len2560_factors_4_4_4_10_4_wgs_128_tpt_128_halfLds_half_op_CI_CI_unitstride_sbrr_dirReg
                                        ; -- End function
	.section	.AMDGPU.csdata,"",@progbits
; Kernel info:
; codeLenInByte = 11972
; NumSgprs: 41
; NumVgprs: 98
; ScratchSize: 0
; MemoryBound: 0
; FloatMode: 240
; IeeeMode: 1
; LDSByteSize: 0 bytes/workgroup (compile time only)
; SGPRBlocks: 5
; VGPRBlocks: 12
; NumSGPRsForWavesPerEU: 41
; NumVGPRsForWavesPerEU: 98
; Occupancy: 12
; WaveLimiterHint : 1
; COMPUTE_PGM_RSRC2:SCRATCH_EN: 0
; COMPUTE_PGM_RSRC2:USER_SGPR: 2
; COMPUTE_PGM_RSRC2:TRAP_HANDLER: 0
; COMPUTE_PGM_RSRC2:TGID_X_EN: 1
; COMPUTE_PGM_RSRC2:TGID_Y_EN: 0
; COMPUTE_PGM_RSRC2:TGID_Z_EN: 0
; COMPUTE_PGM_RSRC2:TIDIG_COMP_CNT: 0
	.text
	.p2alignl 7, 3214868480
	.fill 96, 4, 3214868480
	.type	__hip_cuid_e8f47865dc606b72,@object ; @__hip_cuid_e8f47865dc606b72
	.section	.bss,"aw",@nobits
	.globl	__hip_cuid_e8f47865dc606b72
__hip_cuid_e8f47865dc606b72:
	.byte	0                               ; 0x0
	.size	__hip_cuid_e8f47865dc606b72, 1

	.ident	"AMD clang version 19.0.0git (https://github.com/RadeonOpenCompute/llvm-project roc-6.4.0 25133 c7fe45cf4b819c5991fe208aaa96edf142730f1d)"
	.section	".note.GNU-stack","",@progbits
	.addrsig
	.addrsig_sym __hip_cuid_e8f47865dc606b72
	.amdgpu_metadata
---
amdhsa.kernels:
  - .args:
      - .actual_access:  read_only
        .address_space:  global
        .offset:         0
        .size:           8
        .value_kind:     global_buffer
      - .offset:         8
        .size:           8
        .value_kind:     by_value
      - .actual_access:  read_only
        .address_space:  global
        .offset:         16
        .size:           8
        .value_kind:     global_buffer
      - .actual_access:  read_only
        .address_space:  global
        .offset:         24
        .size:           8
        .value_kind:     global_buffer
      - .actual_access:  read_only
        .address_space:  global
        .offset:         32
        .size:           8
        .value_kind:     global_buffer
      - .offset:         40
        .size:           8
        .value_kind:     by_value
      - .actual_access:  read_only
        .address_space:  global
        .offset:         48
        .size:           8
        .value_kind:     global_buffer
      - .actual_access:  read_only
        .address_space:  global
        .offset:         56
        .size:           8
        .value_kind:     global_buffer
      - .offset:         64
        .size:           4
        .value_kind:     by_value
      - .actual_access:  read_only
        .address_space:  global
        .offset:         72
        .size:           8
        .value_kind:     global_buffer
      - .actual_access:  read_only
        .address_space:  global
        .offset:         80
        .size:           8
        .value_kind:     global_buffer
      - .actual_access:  read_only
        .address_space:  global
        .offset:         88
        .size:           8
        .value_kind:     global_buffer
      - .actual_access:  write_only
        .address_space:  global
        .offset:         96
        .size:           8
        .value_kind:     global_buffer
    .group_segment_fixed_size: 0
    .kernarg_segment_align: 8
    .kernarg_segment_size: 104
    .language:       OpenCL C
    .language_version:
      - 2
      - 0
    .max_flat_workgroup_size: 128
    .name:           fft_rtc_back_len2560_factors_4_4_4_10_4_wgs_128_tpt_128_halfLds_half_op_CI_CI_unitstride_sbrr_dirReg
    .private_segment_fixed_size: 0
    .sgpr_count:     41
    .sgpr_spill_count: 0
    .symbol:         fft_rtc_back_len2560_factors_4_4_4_10_4_wgs_128_tpt_128_halfLds_half_op_CI_CI_unitstride_sbrr_dirReg.kd
    .uniform_work_group_size: 1
    .uses_dynamic_stack: false
    .vgpr_count:     98
    .vgpr_spill_count: 0
    .wavefront_size: 32
    .workgroup_processor_mode: 1
amdhsa.target:   amdgcn-amd-amdhsa--gfx1201
amdhsa.version:
  - 1
  - 2
...

	.end_amdgpu_metadata
